;; amdgpu-corpus repo=zjin-lcf/HeCBench kind=compiled arch=gfx1100 opt=O3
	.text
	.amdgcn_target "amdgcn-amd-amdhsa--gfx1100"
	.amdhsa_code_object_version 6
	.protected	_Z11firstColGPUPji      ; -- Begin function _Z11firstColGPUPji
	.globl	_Z11firstColGPUPji
	.p2align	8
	.type	_Z11firstColGPUPji,@function
_Z11firstColGPUPji:                     ; @_Z11firstColGPUPji
; %bb.0:
	s_load_b64 s[2:3], s[0:1], 0x0
	v_lshlrev_b32_e32 v2, 2, v0
	s_load_b32 s1, s[0:1], 0x8
	s_waitcnt lgkmcnt(0)
	global_load_b32 v1, v2, s[2:3]
	s_cmpk_lt_i32 s1, 0x200
	s_waitcnt vmcnt(0)
	ds_store_b32 v2, v1
	s_waitcnt lgkmcnt(0)
	s_barrier
	buffer_gl0_inv
	s_cbranch_scc1 .LBB0_19
; %bb.1:
	v_cmp_gt_u32_e32 vcc_lo, 32, v0
	v_add_co_u32 v0, s0, v2, s2
	s_delay_alu instid0(VALU_DEP_1) | instskip(SKIP_1) | instid1(VALU_DEP_3)
	v_add_co_ci_u32_e64 v1, null, 0, s3, s0
	v_add_nc_u32_e32 v3, 0x400, v2
	v_add_co_u32 v0, s0, 0x400, v0
	v_add_nc_u32_e32 v4, 0x480, v2
	v_add_nc_u32_e32 v5, 0x3a4, v2
	;; [unrolled: 1-line block ×17, first 2 shown]
	v_add_co_ci_u32_e64 v1, s0, 0, v1, s0
	s_lshr_b32 s0, s1, 8
	s_delay_alu instid0(SALU_CYCLE_1)
	s_add_i32 s1, s0, -1
	s_branch .LBB0_3
.LBB0_2:                                ;   in Loop: Header=BB0_3 Depth=1
	s_or_b32 exec_lo, exec_lo, s0
	s_waitcnt lgkmcnt(0)
	s_barrier
	buffer_gl0_inv
	ds_load_b32 v21, v2 offset:1024
	s_add_i32 s1, s1, -1
	s_delay_alu instid0(SALU_CYCLE_1) | instskip(SKIP_3) | instid1(VALU_DEP_1)
	s_cmp_eq_u32 s1, 0
	s_waitcnt lgkmcnt(0)
	global_store_b32 v[0:1], v21, off
	v_add_co_u32 v0, s0, 0x400, v0
	v_add_co_ci_u32_e64 v1, s0, 0, v1, s0
	ds_store_b32 v2, v21
	s_waitcnt lgkmcnt(0)
	s_waitcnt_vscnt null, 0x0
	s_barrier
	buffer_gl0_inv
	s_cbranch_scc1 .LBB0_19
.LBB0_3:                                ; =>This Inner Loop Header: Depth=1
	s_and_saveexec_b32 s0, vcc_lo
	s_cbranch_execz .LBB0_5
; %bb.4:                                ;   in Loop: Header=BB0_3 Depth=1
	ds_load_2addr_b32 v[21:22], v2 offset0:137 offset1:201
	ds_load_2addr_b32 v[23:24], v2 offset1:77
	s_waitcnt lgkmcnt(1)
	v_add_nc_u32_e32 v21, v21, v22
	s_waitcnt lgkmcnt(0)
	s_delay_alu instid0(VALU_DEP_1)
	v_add3_u32 v21, v21, v24, v23
	ds_store_b32 v2, v21 offset:1024
.LBB0_5:                                ;   in Loop: Header=BB0_3 Depth=1
	s_or_b32 exec_lo, exec_lo, s0
	s_waitcnt lgkmcnt(0)
	s_barrier
	buffer_gl0_inv
	s_and_saveexec_b32 s0, vcc_lo
	s_cbranch_execz .LBB0_7
; %bb.6:                                ;   in Loop: Header=BB0_3 Depth=1
	ds_load_b32 v21, v6
	ds_load_b32 v22, v5
	;; [unrolled: 1-line block ×3, first 2 shown]
	ds_load_b32 v24, v2 offset:128
	s_waitcnt lgkmcnt(2)
	v_add_nc_u32_e32 v21, v21, v22
	s_waitcnt lgkmcnt(0)
	s_delay_alu instid0(VALU_DEP_1)
	v_add3_u32 v21, v21, v23, v24
	ds_store_b32 v4, v21
.LBB0_7:                                ;   in Loop: Header=BB0_3 Depth=1
	s_or_b32 exec_lo, exec_lo, s0
	s_waitcnt lgkmcnt(0)
	s_barrier
	buffer_gl0_inv
	s_and_saveexec_b32 s0, vcc_lo
	s_cbranch_execz .LBB0_9
; %bb.8:                                ;   in Loop: Header=BB0_3 Depth=1
	ds_load_b32 v21, v10
	ds_load_b32 v22, v9
	;; [unrolled: 1-line block ×3, first 2 shown]
	ds_load_b32 v24, v2 offset:256
	s_waitcnt lgkmcnt(2)
	v_add_nc_u32_e32 v21, v21, v22
	s_waitcnt lgkmcnt(0)
	s_delay_alu instid0(VALU_DEP_1)
	v_add3_u32 v21, v21, v23, v24
	ds_store_b32 v8, v21
.LBB0_9:                                ;   in Loop: Header=BB0_3 Depth=1
	s_or_b32 exec_lo, exec_lo, s0
	s_waitcnt lgkmcnt(0)
	s_barrier
	buffer_gl0_inv
	s_and_saveexec_b32 s0, vcc_lo
	s_cbranch_execz .LBB0_11
; %bb.10:                               ;   in Loop: Header=BB0_3 Depth=1
	ds_load_b32 v21, v5
	ds_load_b32 v22, v13
	ds_load_b32 v23, v14
	ds_load_b32 v24, v2 offset:384
	s_waitcnt lgkmcnt(2)
	v_add_nc_u32_e32 v21, v21, v22
	s_waitcnt lgkmcnt(0)
	s_delay_alu instid0(VALU_DEP_1)
	v_add3_u32 v21, v21, v23, v24
	ds_store_b32 v12, v21
.LBB0_11:                               ;   in Loop: Header=BB0_3 Depth=1
	s_or_b32 exec_lo, exec_lo, s0
	s_waitcnt lgkmcnt(0)
	s_barrier
	buffer_gl0_inv
	s_and_saveexec_b32 s0, vcc_lo
	s_cbranch_execz .LBB0_13
; %bb.12:                               ;   in Loop: Header=BB0_3 Depth=1
	ds_load_b32 v21, v16
	ds_load_b32 v22, v9
	ds_load_b32 v23, v17
	ds_load_b32 v24, v2 offset:512
	s_waitcnt lgkmcnt(2)
	v_add_nc_u32_e32 v21, v22, v21
	s_waitcnt lgkmcnt(0)
	s_delay_alu instid0(VALU_DEP_1)
	v_add3_u32 v21, v21, v23, v24
	ds_store_b32 v15, v21
.LBB0_13:                               ;   in Loop: Header=BB0_3 Depth=1
	;; [unrolled: 18-line block ×3, first 2 shown]
	s_or_b32 exec_lo, exec_lo, s0
	s_waitcnt lgkmcnt(0)
	s_barrier
	buffer_gl0_inv
	s_and_saveexec_b32 s0, vcc_lo
	s_cbranch_execz .LBB0_17
; %bb.16:                               ;   in Loop: Header=BB0_3 Depth=1
	ds_load_2addr_b32 v[21:22], v3 offset0:13 offset1:73
	ds_load_b32 v23, v3 offset:548
	ds_load_b32 v24, v2 offset:768
	s_waitcnt lgkmcnt(1)
	v_add_nc_u32_e32 v22, v22, v23
	s_waitcnt lgkmcnt(0)
	s_delay_alu instid0(VALU_DEP_1)
	v_add3_u32 v21, v22, v21, v24
	ds_store_b32 v3, v21 offset:768
.LBB0_17:                               ;   in Loop: Header=BB0_3 Depth=1
	s_or_b32 exec_lo, exec_lo, s0
	s_waitcnt lgkmcnt(0)
	s_barrier
	buffer_gl0_inv
	s_and_saveexec_b32 s0, vcc_lo
	s_cbranch_execz .LBB0_2
; %bb.18:                               ;   in Loop: Header=BB0_3 Depth=1
	ds_load_2addr_b32 v[21:22], v3 offset0:45 offset1:105
	ds_load_b32 v23, v3 offset:676
	ds_load_b32 v24, v2 offset:896
	s_waitcnt lgkmcnt(1)
	v_add_nc_u32_e32 v22, v22, v23
	s_waitcnt lgkmcnt(0)
	s_delay_alu instid0(VALU_DEP_1)
	v_add3_u32 v21, v22, v21, v24
	ds_store_b32 v3, v21 offset:896
	s_branch .LBB0_2
.LBB0_19:
	s_endpgm
	.section	.rodata,"a",@progbits
	.p2align	6, 0x0
	.amdhsa_kernel _Z11firstColGPUPji
		.amdhsa_group_segment_fixed_size 2048
		.amdhsa_private_segment_fixed_size 0
		.amdhsa_kernarg_size 12
		.amdhsa_user_sgpr_count 15
		.amdhsa_user_sgpr_dispatch_ptr 0
		.amdhsa_user_sgpr_queue_ptr 0
		.amdhsa_user_sgpr_kernarg_segment_ptr 1
		.amdhsa_user_sgpr_dispatch_id 0
		.amdhsa_user_sgpr_private_segment_size 0
		.amdhsa_wavefront_size32 1
		.amdhsa_uses_dynamic_stack 0
		.amdhsa_enable_private_segment 0
		.amdhsa_system_sgpr_workgroup_id_x 1
		.amdhsa_system_sgpr_workgroup_id_y 0
		.amdhsa_system_sgpr_workgroup_id_z 0
		.amdhsa_system_sgpr_workgroup_info 0
		.amdhsa_system_vgpr_workitem_id 0
		.amdhsa_next_free_vgpr 25
		.amdhsa_next_free_sgpr 4
		.amdhsa_reserve_vcc 1
		.amdhsa_float_round_mode_32 0
		.amdhsa_float_round_mode_16_64 0
		.amdhsa_float_denorm_mode_32 3
		.amdhsa_float_denorm_mode_16_64 3
		.amdhsa_dx10_clamp 1
		.amdhsa_ieee_mode 1
		.amdhsa_fp16_overflow 0
		.amdhsa_workgroup_processor_mode 1
		.amdhsa_memory_ordered 1
		.amdhsa_forward_progress 0
		.amdhsa_shared_vgpr_count 0
		.amdhsa_exception_fp_ieee_invalid_op 0
		.amdhsa_exception_fp_denorm_src 0
		.amdhsa_exception_fp_ieee_div_zero 0
		.amdhsa_exception_fp_ieee_overflow 0
		.amdhsa_exception_fp_ieee_underflow 0
		.amdhsa_exception_fp_ieee_inexact 0
		.amdhsa_exception_int_div_zero 0
	.end_amdhsa_kernel
	.text
.Lfunc_end0:
	.size	_Z11firstColGPUPji, .Lfunc_end0-_Z11firstColGPUPji
                                        ; -- End function
	.section	.AMDGPU.csdata,"",@progbits
; Kernel info:
; codeLenInByte = 1068
; NumSgprs: 6
; NumVgprs: 25
; ScratchSize: 0
; MemoryBound: 0
; FloatMode: 240
; IeeeMode: 1
; LDSByteSize: 2048 bytes/workgroup (compile time only)
; SGPRBlocks: 0
; VGPRBlocks: 3
; NumSGPRsForWavesPerEU: 6
; NumVGPRsForWavesPerEU: 25
; Occupancy: 16
; WaveLimiterHint : 0
; COMPUTE_PGM_RSRC2:SCRATCH_EN: 0
; COMPUTE_PGM_RSRC2:USER_SGPR: 15
; COMPUTE_PGM_RSRC2:TRAP_HANDLER: 0
; COMPUTE_PGM_RSRC2:TGID_X_EN: 1
; COMPUTE_PGM_RSRC2:TGID_Y_EN: 0
; COMPUTE_PGM_RSRC2:TGID_Z_EN: 0
; COMPUTE_PGM_RSRC2:TIDIG_COMP_CNT: 0
	.text
	.protected	_Z7colYGPUPji           ; -- Begin function _Z7colYGPUPji
	.globl	_Z7colYGPUPji
	.p2align	8
	.type	_Z7colYGPUPji,@function
_Z7colYGPUPji:                          ; @_Z7colYGPUPji
; %bb.0:
	s_load_b64 s[2:3], s[0:1], 0x0
	v_lshlrev_b32_e32 v3, 2, v0
	s_load_b32 s0, s[0:1], 0x8
	s_waitcnt lgkmcnt(0)
	global_load_b32 v4, v3, s[2:3] offset:2048
	v_add_co_u32 v1, s1, s2, v3
	s_delay_alu instid0(VALU_DEP_1)
	v_add_co_ci_u32_e64 v2, null, s3, 0, s1
	s_cmpk_lt_i32 s0, 0x100
	s_waitcnt vmcnt(0)
	ds_store_b32 v3, v4 offset:2048
	s_waitcnt lgkmcnt(0)
	s_barrier
	buffer_gl0_inv
	s_cbranch_scc1 .LBB1_19
; %bb.1:
	s_ashr_i32 s1, s0, 31
	v_cmp_gt_u32_e32 vcc_lo, 32, v0
	s_lshr_b32 s1, s1, 24
	v_add_nc_u32_e32 v0, 0x400, v3
	v_add_nc_u32_e32 v4, 0x800, v3
	;; [unrolled: 1-line block ×27, first 2 shown]
	s_add_i32 s0, s0, s1
	s_delay_alu instid0(SALU_CYCLE_1)
	s_ashr_i32 s0, s0, 8
	s_branch .LBB1_3
.LBB1_2:                                ;   in Loop: Header=BB1_3 Depth=1
	s_or_b32 exec_lo, exec_lo, s1
	s_add_i32 s0, s0, -1
	s_waitcnt lgkmcnt(0)
	s_cmp_eq_u32 s0, 0
	s_barrier
	buffer_gl0_inv
	s_cbranch_scc1 .LBB1_19
.LBB1_3:                                ; =>This Inner Loop Header: Depth=1
	ds_load_2addr_stride64_b32 v[30:31], v3 offset0:4 offset1:8
	s_waitcnt lgkmcnt(0)
	ds_store_2addr_stride64_b32 v3, v30, v31 offset1:4
	s_waitcnt lgkmcnt(0)
	s_barrier
	buffer_gl0_inv
	s_and_saveexec_b32 s1, vcc_lo
	s_cbranch_execz .LBB1_5
; %bb.4:                                ;   in Loop: Header=BB1_3 Depth=1
	ds_load_2addr_b32 v[30:31], v29 offset0:77 offset1:137
	ds_load_b32 v32, v3 offset:1828
	ds_load_b32 v33, v0
	s_waitcnt lgkmcnt(1)
	v_add_nc_u32_e32 v31, v31, v32
	s_waitcnt lgkmcnt(0)
	s_delay_alu instid0(VALU_DEP_1)
	v_add3_u32 v30, v31, v30, v33
	ds_store_b32 v3, v30 offset:2048
.LBB1_5:                                ;   in Loop: Header=BB1_3 Depth=1
	s_or_b32 exec_lo, exec_lo, s1
	s_waitcnt lgkmcnt(0)
	s_barrier
	buffer_gl0_inv
	s_and_saveexec_b32 s1, vcc_lo
	s_cbranch_execz .LBB1_7
; %bb.6:                                ;   in Loop: Header=BB1_3 Depth=1
	ds_load_b32 v30, v6
	ds_load_b32 v31, v7
	ds_load_b32 v32, v8
	ds_load_b32 v33, v9
	s_waitcnt lgkmcnt(2)
	v_add_nc_u32_e32 v30, v31, v30
	s_waitcnt lgkmcnt(0)
	s_delay_alu instid0(VALU_DEP_1)
	v_add3_u32 v30, v30, v32, v33
	ds_store_b32 v5, v30
.LBB1_7:                                ;   in Loop: Header=BB1_3 Depth=1
	s_or_b32 exec_lo, exec_lo, s1
	s_waitcnt lgkmcnt(0)
	s_barrier
	buffer_gl0_inv
	s_and_saveexec_b32 s1, vcc_lo
	s_cbranch_execz .LBB1_9
; %bb.8:                                ;   in Loop: Header=BB1_3 Depth=1
	ds_load_b32 v30, v11
	ds_load_b32 v31, v12
	;; [unrolled: 1-line block ×4, first 2 shown]
	s_waitcnt lgkmcnt(2)
	v_add_nc_u32_e32 v30, v31, v30
	s_waitcnt lgkmcnt(0)
	s_delay_alu instid0(VALU_DEP_1)
	v_add3_u32 v30, v30, v32, v33
	ds_store_b32 v10, v30
.LBB1_9:                                ;   in Loop: Header=BB1_3 Depth=1
	s_or_b32 exec_lo, exec_lo, s1
	s_waitcnt lgkmcnt(0)
	s_barrier
	buffer_gl0_inv
	s_and_saveexec_b32 s1, vcc_lo
	s_cbranch_execz .LBB1_11
; %bb.10:                               ;   in Loop: Header=BB1_3 Depth=1
	ds_load_b32 v30, v16
	ds_load_b32 v31, v6
	ds_load_b32 v32, v17
	ds_load_b32 v33, v18
	s_waitcnt lgkmcnt(2)
	v_add_nc_u32_e32 v30, v31, v30
	s_waitcnt lgkmcnt(0)
	s_delay_alu instid0(VALU_DEP_1)
	v_add3_u32 v30, v30, v32, v33
	ds_store_b32 v15, v30
.LBB1_11:                               ;   in Loop: Header=BB1_3 Depth=1
	s_or_b32 exec_lo, exec_lo, s1
	s_waitcnt lgkmcnt(0)
	s_barrier
	buffer_gl0_inv
	s_and_saveexec_b32 s1, vcc_lo
	s_cbranch_execz .LBB1_13
; %bb.12:                               ;   in Loop: Header=BB1_3 Depth=1
	ds_load_b32 v30, v20
	ds_load_b32 v31, v11
	ds_load_b32 v32, v21
	ds_load_b32 v33, v22
	s_waitcnt lgkmcnt(2)
	v_add_nc_u32_e32 v30, v31, v30
	s_waitcnt lgkmcnt(0)
	s_delay_alu instid0(VALU_DEP_1)
	v_add3_u32 v30, v30, v32, v33
	ds_store_b32 v19, v30
.LBB1_13:                               ;   in Loop: Header=BB1_3 Depth=1
	;; [unrolled: 18-line block ×3, first 2 shown]
	s_or_b32 exec_lo, exec_lo, s1
	s_waitcnt lgkmcnt(0)
	s_barrier
	buffer_gl0_inv
	s_and_saveexec_b32 s1, vcc_lo
	s_cbranch_execz .LBB1_17
; %bb.16:                               ;   in Loop: Header=BB1_3 Depth=1
	ds_load_2addr_b32 v[30:31], v4 offset0:13 offset1:73
	ds_load_b32 v32, v4 offset:548
	ds_load_b32 v33, v27
	s_waitcnt lgkmcnt(1)
	v_add_nc_u32_e32 v31, v31, v32
	s_waitcnt lgkmcnt(0)
	s_delay_alu instid0(VALU_DEP_1)
	v_add3_u32 v30, v31, v30, v33
	ds_store_b32 v4, v30 offset:768
.LBB1_17:                               ;   in Loop: Header=BB1_3 Depth=1
	s_or_b32 exec_lo, exec_lo, s1
	s_waitcnt lgkmcnt(0)
	s_barrier
	buffer_gl0_inv
	s_and_saveexec_b32 s1, vcc_lo
	s_cbranch_execz .LBB1_2
; %bb.18:                               ;   in Loop: Header=BB1_3 Depth=1
	ds_load_2addr_b32 v[30:31], v4 offset0:45 offset1:105
	ds_load_b32 v32, v4 offset:676
	ds_load_b32 v33, v28
	s_waitcnt lgkmcnt(1)
	v_add_nc_u32_e32 v31, v31, v32
	s_waitcnt lgkmcnt(0)
	s_delay_alu instid0(VALU_DEP_1)
	v_add3_u32 v30, v31, v30, v33
	ds_store_b32 v4, v30 offset:896
	s_branch .LBB1_2
.LBB1_19:
	ds_load_b32 v0, v3 offset:2048
	ds_load_2addr_stride64_b32 v[3:4], v3 offset1:4
	s_waitcnt lgkmcnt(1)
	global_store_b32 v[1:2], v0, off offset:2048
	s_waitcnt lgkmcnt(0)
	s_clause 0x1
	global_store_b32 v[1:2], v4, off offset:1024
	global_store_b32 v[1:2], v3, off
	s_nop 0
	s_sendmsg sendmsg(MSG_DEALLOC_VGPRS)
	s_endpgm
	.section	.rodata,"a",@progbits
	.p2align	6, 0x0
	.amdhsa_kernel _Z7colYGPUPji
		.amdhsa_group_segment_fixed_size 3072
		.amdhsa_private_segment_fixed_size 0
		.amdhsa_kernarg_size 12
		.amdhsa_user_sgpr_count 15
		.amdhsa_user_sgpr_dispatch_ptr 0
		.amdhsa_user_sgpr_queue_ptr 0
		.amdhsa_user_sgpr_kernarg_segment_ptr 1
		.amdhsa_user_sgpr_dispatch_id 0
		.amdhsa_user_sgpr_private_segment_size 0
		.amdhsa_wavefront_size32 1
		.amdhsa_uses_dynamic_stack 0
		.amdhsa_enable_private_segment 0
		.amdhsa_system_sgpr_workgroup_id_x 1
		.amdhsa_system_sgpr_workgroup_id_y 0
		.amdhsa_system_sgpr_workgroup_id_z 0
		.amdhsa_system_sgpr_workgroup_info 0
		.amdhsa_system_vgpr_workitem_id 0
		.amdhsa_next_free_vgpr 34
		.amdhsa_next_free_sgpr 4
		.amdhsa_reserve_vcc 1
		.amdhsa_float_round_mode_32 0
		.amdhsa_float_round_mode_16_64 0
		.amdhsa_float_denorm_mode_32 3
		.amdhsa_float_denorm_mode_16_64 3
		.amdhsa_dx10_clamp 1
		.amdhsa_ieee_mode 1
		.amdhsa_fp16_overflow 0
		.amdhsa_workgroup_processor_mode 1
		.amdhsa_memory_ordered 1
		.amdhsa_forward_progress 0
		.amdhsa_shared_vgpr_count 0
		.amdhsa_exception_fp_ieee_invalid_op 0
		.amdhsa_exception_fp_denorm_src 0
		.amdhsa_exception_fp_ieee_div_zero 0
		.amdhsa_exception_fp_ieee_overflow 0
		.amdhsa_exception_fp_ieee_underflow 0
		.amdhsa_exception_fp_ieee_inexact 0
		.amdhsa_exception_int_div_zero 0
	.end_amdhsa_kernel
	.text
.Lfunc_end1:
	.size	_Z7colYGPUPji, .Lfunc_end1-_Z7colYGPUPji
                                        ; -- End function
	.section	.AMDGPU.csdata,"",@progbits
; Kernel info:
; codeLenInByte = 1160
; NumSgprs: 6
; NumVgprs: 34
; ScratchSize: 0
; MemoryBound: 0
; FloatMode: 240
; IeeeMode: 1
; LDSByteSize: 3072 bytes/workgroup (compile time only)
; SGPRBlocks: 0
; VGPRBlocks: 4
; NumSGPRsForWavesPerEU: 6
; NumVGPRsForWavesPerEU: 34
; Occupancy: 16
; WaveLimiterHint : 1
; COMPUTE_PGM_RSRC2:SCRATCH_EN: 0
; COMPUTE_PGM_RSRC2:USER_SGPR: 15
; COMPUTE_PGM_RSRC2:TRAP_HANDLER: 0
; COMPUTE_PGM_RSRC2:TGID_X_EN: 1
; COMPUTE_PGM_RSRC2:TGID_Y_EN: 0
; COMPUTE_PGM_RSRC2:TGID_Z_EN: 0
; COMPUTE_PGM_RSRC2:TIDIG_COMP_CNT: 0
	.text
	.protected	_Z10lastEntGPUPjS_ii    ; -- Begin function _Z10lastEntGPUPjS_ii
	.globl	_Z10lastEntGPUPjS_ii
	.p2align	8
	.type	_Z10lastEntGPUPjS_ii,@function
_Z10lastEntGPUPjS_ii:                   ; @_Z10lastEntGPUPjS_ii
; %bb.0:
	s_load_b64 s[2:3], s[0:1], 0x8
	v_lshlrev_b32_e32 v1, 2, v0
	v_cmp_gt_u32_e32 vcc_lo, 0x100, v0
	s_waitcnt lgkmcnt(0)
	global_load_b32 v2, v1, s[2:3]
	s_waitcnt vmcnt(0)
	ds_store_b32 v1, v2
	s_waitcnt lgkmcnt(0)
	s_barrier
	buffer_gl0_inv
	s_and_saveexec_b32 s4, vcc_lo
	s_cbranch_execz .LBB2_2
; %bb.1:
	v_add_co_u32 v2, s2, s2, v1
	s_delay_alu instid0(VALU_DEP_1)
	v_add_co_ci_u32_e64 v3, null, s3, 0, s2
	global_load_b32 v2, v[2:3], off offset:2048
	s_waitcnt vmcnt(0)
	ds_store_b32 v1, v2 offset:2048
.LBB2_2:
	s_or_b32 exec_lo, exec_lo, s4
	s_waitcnt lgkmcnt(0)
	s_barrier
	buffer_gl0_inv
	ds_load_b32 v2, v1 offset:1024
	s_load_b64 s[2:3], s[0:1], 0x10
	s_waitcnt lgkmcnt(0)
	ds_store_2addr_stride64_b32 v1, v2, v2 offset0:12 offset1:20
	ds_store_b32 v1, v2 offset:7168
	s_waitcnt lgkmcnt(0)
	s_barrier
	buffer_gl0_inv
	ds_load_b32 v2, v1 offset:716
	ds_load_b32 v3, v1 offset:3072
	s_cmp_lt_i32 s3, 2
	s_waitcnt lgkmcnt(0)
	v_add_nc_u32_e32 v2, v3, v2
	ds_store_b32 v1, v2 offset:3072
	s_waitcnt lgkmcnt(0)
	s_barrier
	buffer_gl0_inv
	ds_load_2addr_b32 v[2:3], v1 offset0:119 offset1:196
	ds_load_b32 v4, v1 offset:5120
	s_waitcnt lgkmcnt(0)
	v_add3_u32 v2, v2, v3, v4
	ds_store_b32 v1, v2 offset:5120
	s_waitcnt lgkmcnt(0)
	s_barrier
	buffer_gl0_inv
	ds_load_2addr_stride64_b32 v[2:3], v1 offset0:3 offset1:28
	ds_load_2addr_b32 v[4:5], v1 offset0:55 offset1:132
	s_waitcnt lgkmcnt(0)
	v_add_nc_u32_e32 v2, v5, v2
	s_delay_alu instid0(VALU_DEP_1)
	v_add3_u32 v2, v2, v4, v3
	ds_store_b32 v1, v2 offset:7168
	s_waitcnt lgkmcnt(0)
	s_barrier
	buffer_gl0_inv
	s_cbranch_scc1 .LBB2_15
; %bb.3:
	s_load_b64 s[4:5], s[0:1], 0x0
	v_add3_u32 v8, v0, s2, 0xffffff00
	v_add_nc_u32_e32 v3, 0x7d8, v1
	v_dual_mov_b32 v7, 0 :: v_dual_add_nc_u32 v4, 0xfd4, v1
	v_add_nc_u32_e32 v5, 0x17e4, v1
	s_delay_alu instid0(VALU_DEP_4) | instskip(SKIP_3) | instid1(VALU_DEP_2)
	v_ashrrev_i32_e32 v9, 31, v8
	v_add_nc_u32_e32 v6, 0x1fd8, v1
	s_mov_b32 s10, 1
	s_mov_b32 s6, s2
	v_lshlrev_b64 v[0:1], 2, v[8:9]
	s_waitcnt lgkmcnt(0)
	s_add_u32 s11, s4, 0xfffffc00
	s_addc_u32 s12, s5, -1
	s_add_u32 s13, s4, 0xfffffd34
	s_addc_u32 s14, s5, -1
	;; [unrolled: 2-line block ×4, first 2 shown]
	s_branch .LBB2_5
.LBB2_4:                                ;   in Loop: Header=BB2_5 Depth=1
	s_or_b32 exec_lo, exec_lo, s19
	s_add_i32 s10, s10, 1
	s_add_i32 s6, s6, s2
	s_cmp_eq_u32 s10, s3
	s_waitcnt_vscnt null, 0x0
	s_barrier
	buffer_gl0_inv
	s_cbranch_scc1 .LBB2_15
.LBB2_5:                                ; =>This Loop Header: Depth=1
                                        ;     Child Loop BB2_7 Depth 2
                                        ;     Child Loop BB2_9 Depth 2
	;; [unrolled: 1-line block ×4, first 2 shown]
	s_and_saveexec_b32 s19, vcc_lo
	s_cbranch_execz .LBB2_4
; %bb.6:                                ;   in Loop: Header=BB2_5 Depth=1
	s_ashr_i32 s7, s6, 31
	v_mov_b32_e32 v2, 0
	s_lshl_b64 s[0:1], s[6:7], 2
	s_mov_b32 s7, 0
	s_add_u32 s8, s11, s0
	s_addc_u32 s9, s12, s1
.LBB2_7:                                ;   Parent Loop BB2_5 Depth=1
                                        ; =>  This Inner Loop Header: Depth=2
	s_clause 0x2
	global_load_b128 v[8:11], v7, s[8:9]
	global_load_b128 v[12:15], v7, s[8:9] offset:16
	global_load_b96 v[16:18], v7, s[8:9] offset:32
	v_add_nc_u32_e32 v27, s7, v3
	s_add_u32 s8, s8, 44
	s_addc_u32 s9, s9, 0
	s_sub_i32 s7, s7, 44
	ds_load_b32 v31, v27 offset:40
	ds_load_2addr_b32 v[19:20], v27 offset0:8 offset1:9
	ds_load_2addr_b32 v[21:22], v27 offset0:6 offset1:7
	;; [unrolled: 1-line block ×4, first 2 shown]
	ds_load_2addr_b32 v[27:28], v27 offset1:1
	s_cmpk_eq_i32 s7, 0xfecc
	s_waitcnt vmcnt(2) lgkmcnt(5)
	v_mad_u64_u32 v[29:30], null, v31, v8, v[2:3]
	s_waitcnt lgkmcnt(4)
	v_mul_lo_u32 v2, v20, v9
	v_mul_lo_u32 v8, v19, v10
	s_waitcnt lgkmcnt(3)
	v_mul_lo_u32 v9, v22, v11
	s_waitcnt vmcnt(1)
	v_mul_lo_u32 v10, v21, v12
	s_waitcnt lgkmcnt(2)
	v_mul_lo_u32 v11, v23, v14
	s_delay_alu instid0(VALU_DEP_4) | instskip(SKIP_1) | instid1(VALU_DEP_2)
	v_add3_u32 v2, v2, v29, v8
	v_mul_lo_u32 v8, v24, v13
	v_add3_u32 v2, v9, v2, v10
	s_waitcnt lgkmcnt(1)
	v_mul_lo_u32 v9, v26, v15
	s_waitcnt vmcnt(0)
	v_mul_lo_u32 v10, v25, v16
	s_delay_alu instid0(VALU_DEP_4) | instskip(SKIP_3) | instid1(VALU_DEP_3)
	v_add3_u32 v2, v8, v2, v11
	s_waitcnt lgkmcnt(0)
	v_mul_lo_u32 v8, v28, v17
	v_mul_lo_u32 v11, v27, v18
	v_add3_u32 v2, v9, v2, v10
	s_delay_alu instid0(VALU_DEP_1)
	v_add3_u32 v2, v8, v2, v11
	s_cbranch_scc0 .LBB2_7
; %bb.8:                                ;   in Loop: Header=BB2_5 Depth=1
	s_add_u32 s8, s13, s0
	s_addc_u32 s9, s14, s1
	s_mov_b32 s7, 0
.LBB2_9:                                ;   Parent Loop BB2_5 Depth=1
                                        ; =>  This Inner Loop Header: Depth=2
	s_clause 0x2
	global_load_b128 v[8:11], v7, s[8:9]
	global_load_b128 v[12:15], v7, s[8:9] offset:16
	global_load_b128 v[16:19], v7, s[8:9] offset:32
	v_add_nc_u32_e32 v30, s7, v4
	s_sub_i32 s7, s7, 48
	s_add_u32 s8, s8, 48
	s_addc_u32 s9, s9, 0
	ds_load_2addr_b32 v[20:21], v30 offset0:10 offset1:11
	ds_load_2addr_b32 v[22:23], v30 offset0:8 offset1:9
	;; [unrolled: 1-line block ×5, first 2 shown]
	s_cmpk_eq_i32 s7, 0xff10
	s_waitcnt vmcnt(2) lgkmcnt(4)
	v_mul_lo_u32 v21, v21, v8
	v_mul_lo_u32 v20, v20, v9
	ds_load_2addr_b32 v[8:9], v30 offset1:1
	s_waitcnt lgkmcnt(4)
	v_mul_lo_u32 v10, v23, v10
	v_mul_lo_u32 v11, v22, v11
	s_waitcnt vmcnt(1) lgkmcnt(3)
	v_mul_lo_u32 v12, v25, v12
	v_mul_lo_u32 v13, v24, v13
	v_add3_u32 v2, v21, v2, v20
	s_delay_alu instid0(VALU_DEP_1) | instskip(SKIP_3) | instid1(VALU_DEP_3)
	v_add3_u32 v2, v10, v2, v11
	s_waitcnt lgkmcnt(2)
	v_mul_lo_u32 v10, v27, v14
	v_mul_lo_u32 v11, v26, v15
	v_add3_u32 v2, v12, v2, v13
	s_waitcnt vmcnt(0) lgkmcnt(1)
	v_mul_lo_u32 v12, v29, v16
	v_mul_lo_u32 v13, v28, v17
	s_waitcnt lgkmcnt(0)
	v_mul_lo_u32 v9, v9, v18
	v_mul_lo_u32 v8, v8, v19
	v_add3_u32 v2, v10, v2, v11
	s_delay_alu instid0(VALU_DEP_1) | instskip(NEXT) | instid1(VALU_DEP_1)
	v_add3_u32 v2, v12, v2, v13
	v_add3_u32 v2, v9, v2, v8
	s_cbranch_scc0 .LBB2_9
; %bb.10:                               ;   in Loop: Header=BB2_5 Depth=1
	s_add_u32 s8, s15, s0
	s_addc_u32 s9, s16, s1
	s_mov_b32 s7, 0
	s_set_inst_prefetch_distance 0x1
	.p2align	6
.LBB2_11:                               ;   Parent Loop BB2_5 Depth=1
                                        ; =>  This Inner Loop Header: Depth=2
	s_clause 0x1
	global_load_b128 v[8:11], v7, s[8:9]
	global_load_b128 v[12:15], v7, s[8:9] offset:16
	v_add_nc_u32_e32 v22, s7, v5
	s_sub_i32 s7, s7, 32
	s_add_u32 s8, s8, 32
	s_addc_u32 s9, s9, 0
	ds_load_2addr_b32 v[16:17], v22 offset0:6 offset1:7
	ds_load_2addr_b32 v[18:19], v22 offset0:4 offset1:5
	;; [unrolled: 1-line block ×3, first 2 shown]
	ds_load_2addr_b32 v[22:23], v22 offset1:1
	s_cmpk_eq_i32 s7, 0xff00
	s_waitcnt vmcnt(1) lgkmcnt(3)
	v_mul_lo_u32 v8, v17, v8
	v_mul_lo_u32 v9, v16, v9
	s_waitcnt lgkmcnt(2)
	v_mul_lo_u32 v10, v19, v10
	v_mul_lo_u32 v11, v18, v11
	s_delay_alu instid0(VALU_DEP_3) | instskip(SKIP_3) | instid1(VALU_DEP_3)
	v_add3_u32 v2, v8, v2, v9
	s_waitcnt vmcnt(0) lgkmcnt(1)
	v_mul_lo_u32 v8, v21, v12
	v_mul_lo_u32 v9, v20, v13
	v_add3_u32 v2, v10, v2, v11
	s_waitcnt lgkmcnt(0)
	v_mul_lo_u32 v10, v23, v14
	v_mul_lo_u32 v11, v22, v15
	s_delay_alu instid0(VALU_DEP_3) | instskip(NEXT) | instid1(VALU_DEP_1)
	v_add3_u32 v2, v8, v2, v9
	v_add3_u32 v2, v10, v2, v11
	s_cbranch_scc0 .LBB2_11
; %bb.12:                               ;   in Loop: Header=BB2_5 Depth=1
	s_set_inst_prefetch_distance 0x2
	s_add_u32 s0, s17, s0
	s_addc_u32 s1, s18, s1
	s_mov_b32 s7, 0
.LBB2_13:                               ;   Parent Loop BB2_5 Depth=1
                                        ; =>  This Inner Loop Header: Depth=2
	s_clause 0x2
	global_load_b128 v[8:11], v7, s[0:1]
	global_load_b128 v[12:15], v7, s[0:1] offset:16
	global_load_b96 v[16:18], v7, s[0:1] offset:32
	v_add_nc_u32_e32 v27, s7, v6
	s_sub_i32 s7, s7, 44
	s_add_u32 s0, s0, 44
	s_addc_u32 s1, s1, 0
	ds_load_b32 v31, v27 offset:40
	ds_load_2addr_b32 v[19:20], v27 offset0:8 offset1:9
	ds_load_2addr_b32 v[21:22], v27 offset0:6 offset1:7
	;; [unrolled: 1-line block ×4, first 2 shown]
	ds_load_2addr_b32 v[27:28], v27 offset1:1
	s_cmpk_eq_i32 s7, 0xff24
	s_waitcnt vmcnt(2) lgkmcnt(5)
	v_mad_u64_u32 v[29:30], null, v31, v8, v[2:3]
	s_waitcnt lgkmcnt(4)
	v_mul_lo_u32 v2, v20, v9
	v_mul_lo_u32 v8, v19, v10
	s_waitcnt lgkmcnt(3)
	v_mul_lo_u32 v9, v22, v11
	s_waitcnt vmcnt(1)
	v_mul_lo_u32 v10, v21, v12
	s_waitcnt lgkmcnt(2)
	v_mul_lo_u32 v11, v23, v14
	s_delay_alu instid0(VALU_DEP_4) | instskip(SKIP_1) | instid1(VALU_DEP_2)
	v_add3_u32 v2, v2, v29, v8
	v_mul_lo_u32 v8, v24, v13
	v_add3_u32 v2, v9, v2, v10
	s_waitcnt lgkmcnt(1)
	v_mul_lo_u32 v9, v26, v15
	s_waitcnt vmcnt(0)
	v_mul_lo_u32 v10, v25, v16
	s_delay_alu instid0(VALU_DEP_4) | instskip(SKIP_3) | instid1(VALU_DEP_3)
	v_add3_u32 v2, v8, v2, v11
	s_waitcnt lgkmcnt(0)
	v_mul_lo_u32 v8, v28, v17
	v_mul_lo_u32 v11, v27, v18
	v_add3_u32 v2, v9, v2, v10
	s_delay_alu instid0(VALU_DEP_1)
	v_add3_u32 v2, v8, v2, v11
	s_cbranch_scc0 .LBB2_13
; %bb.14:                               ;   in Loop: Header=BB2_5 Depth=1
	s_mul_i32 s0, s10, s2
	s_delay_alu instid0(SALU_CYCLE_1) | instskip(NEXT) | instid1(SALU_CYCLE_1)
	s_ashr_i32 s1, s0, 31
	s_lshl_b64 s[0:1], s[0:1], 2
	s_delay_alu instid0(SALU_CYCLE_1) | instskip(SKIP_2) | instid1(VALU_DEP_1)
	s_add_u32 s0, s4, s0
	s_addc_u32 s1, s5, s1
	v_add_co_u32 v8, s0, s0, v0
	v_add_co_ci_u32_e64 v9, s0, s1, v1, s0
	global_store_b32 v[8:9], v2, off
	s_branch .LBB2_4
.LBB2_15:
	s_endpgm
	.section	.rodata,"a",@progbits
	.p2align	6, 0x0
	.amdhsa_kernel _Z10lastEntGPUPjS_ii
		.amdhsa_group_segment_fixed_size 9216
		.amdhsa_private_segment_fixed_size 0
		.amdhsa_kernarg_size 24
		.amdhsa_user_sgpr_count 15
		.amdhsa_user_sgpr_dispatch_ptr 0
		.amdhsa_user_sgpr_queue_ptr 0
		.amdhsa_user_sgpr_kernarg_segment_ptr 1
		.amdhsa_user_sgpr_dispatch_id 0
		.amdhsa_user_sgpr_private_segment_size 0
		.amdhsa_wavefront_size32 1
		.amdhsa_uses_dynamic_stack 0
		.amdhsa_enable_private_segment 0
		.amdhsa_system_sgpr_workgroup_id_x 1
		.amdhsa_system_sgpr_workgroup_id_y 0
		.amdhsa_system_sgpr_workgroup_id_z 0
		.amdhsa_system_sgpr_workgroup_info 0
		.amdhsa_system_vgpr_workitem_id 0
		.amdhsa_next_free_vgpr 32
		.amdhsa_next_free_sgpr 20
		.amdhsa_reserve_vcc 1
		.amdhsa_float_round_mode_32 0
		.amdhsa_float_round_mode_16_64 0
		.amdhsa_float_denorm_mode_32 3
		.amdhsa_float_denorm_mode_16_64 3
		.amdhsa_dx10_clamp 1
		.amdhsa_ieee_mode 1
		.amdhsa_fp16_overflow 0
		.amdhsa_workgroup_processor_mode 1
		.amdhsa_memory_ordered 1
		.amdhsa_forward_progress 0
		.amdhsa_shared_vgpr_count 0
		.amdhsa_exception_fp_ieee_invalid_op 0
		.amdhsa_exception_fp_denorm_src 0
		.amdhsa_exception_fp_ieee_div_zero 0
		.amdhsa_exception_fp_ieee_overflow 0
		.amdhsa_exception_fp_ieee_underflow 0
		.amdhsa_exception_fp_ieee_inexact 0
		.amdhsa_exception_int_div_zero 0
	.end_amdhsa_kernel
	.text
.Lfunc_end2:
	.size	_Z10lastEntGPUPjS_ii, .Lfunc_end2-_Z10lastEntGPUPjS_ii
                                        ; -- End function
	.section	.AMDGPU.csdata,"",@progbits
; Kernel info:
; codeLenInByte = 1672
; NumSgprs: 22
; NumVgprs: 32
; ScratchSize: 0
; MemoryBound: 0
; FloatMode: 240
; IeeeMode: 1
; LDSByteSize: 9216 bytes/workgroup (compile time only)
; SGPRBlocks: 2
; VGPRBlocks: 3
; NumSGPRsForWavesPerEU: 22
; NumVGPRsForWavesPerEU: 32
; Occupancy: 16
; WaveLimiterHint : 0
; COMPUTE_PGM_RSRC2:SCRATCH_EN: 0
; COMPUTE_PGM_RSRC2:USER_SGPR: 15
; COMPUTE_PGM_RSRC2:TRAP_HANDLER: 0
; COMPUTE_PGM_RSRC2:TGID_X_EN: 1
; COMPUTE_PGM_RSRC2:TGID_Y_EN: 0
; COMPUTE_PGM_RSRC2:TGID_Z_EN: 0
; COMPUTE_PGM_RSRC2:TIDIG_COMP_CNT: 0
	.text
	.protected	_Z7colsGPUPjii          ; -- Begin function _Z7colsGPUPjii
	.globl	_Z7colsGPUPjii
	.p2align	8
	.type	_Z7colsGPUPjii,@function
_Z7colsGPUPjii:                         ; @_Z7colsGPUPjii
; %bb.0:
	s_clause 0x1
	s_load_b32 s4, s[0:1], 0x10
	s_load_b64 s[2:3], s[0:1], 0x8
	s_mov_b32 s6, 8
	s_waitcnt lgkmcnt(0)
	s_add_i32 s4, s4, -1
	s_delay_alu instid0(SALU_CYCLE_1)
	s_cmp_eq_u32 s15, s4
	s_cselect_b32 s8, -1, 0
	s_cmp_lg_u32 s15, s4
	s_cbranch_scc1 .LBB3_2
; %bb.1:
	s_ashr_i32 s4, s3, 31
	s_delay_alu instid0(SALU_CYCLE_1) | instskip(NEXT) | instid1(SALU_CYCLE_1)
	s_lshr_b32 s4, s4, 29
	s_add_i32 s4, s3, s4
	s_delay_alu instid0(SALU_CYCLE_1) | instskip(NEXT) | instid1(SALU_CYCLE_1)
	s_and_b32 s4, s4, -8
	s_sub_i32 s3, s3, s4
	s_delay_alu instid0(SALU_CYCLE_1)
	s_cmp_lg_u32 s3, 0
	s_cselect_b32 s6, s3, 8
.LBB3_2:
	s_load_b64 s[4:5], s[0:1], 0x0
	s_lshl_b32 s7, s15, 3
	s_cmp_eq_u32 s15, 0
	v_lshlrev_b32_e32 v3, 2, v0
	s_cselect_b32 s0, -1, 0
	s_delay_alu instid0(SALU_CYCLE_1) | instskip(NEXT) | instid1(VALU_DEP_1)
	v_cndmask_b32_e64 v1, 0, 1, s0
	v_cmp_le_i32_e32 vcc_lo, s6, v1
	v_readfirstlane_b32 s3, v1
	v_cmp_gt_i32_e64 s0, s6, v1
	s_cbranch_vccnz .LBB3_5
; %bb.3:
	s_delay_alu instid0(VALU_DEP_2)
	s_add_i32 s1, s7, s3
	v_lshl_add_u32 v4, s3, 11, v3
	s_mul_i32 s1, s2, s1
	v_mov_b32_e32 v2, 0
	v_add3_u32 v1, v0, s1, 0xffffff00
	s_mov_b32 s1, s3
.LBB3_4:                                ; =>This Inner Loop Header: Depth=1
	s_delay_alu instid0(VALU_DEP_1) | instskip(SKIP_2) | instid1(SALU_CYCLE_1)
	v_lshlrev_b64 v[5:6], 2, v[1:2]
	v_add_nc_u32_e32 v1, s2, v1
	s_add_i32 s1, s1, 1
	s_cmp_ge_i32 s1, s6
	s_waitcnt lgkmcnt(0)
	s_delay_alu instid0(VALU_DEP_2)
	v_add_co_u32 v5, vcc_lo, s4, v5
	v_add_co_ci_u32_e32 v6, vcc_lo, s5, v6, vcc_lo
	global_load_b32 v5, v[5:6], off
	s_waitcnt vmcnt(0)
	ds_store_b32 v4, v5
	v_add_nc_u32_e32 v4, 0x800, v4
	s_cbranch_scc0 .LBB3_4
.LBB3_5:
	s_cmpk_lt_i32 s2, 0x200
	s_waitcnt lgkmcnt(0)
	s_barrier
	buffer_gl0_inv
	s_cbranch_scc1 .LBB3_26
; %bb.6:
	v_lshrrev_b32_e32 v1, 5, v0
	v_and_b32_e32 v2, 31, v0
	v_or_b32_e32 v5, s15, v0
	v_or_b32_e32 v30, 0xffffff80, v3
	s_add_i32 s7, s7, s3
	v_lshlrev_b32_e32 v29, 11, v1
	v_cmp_gt_i32_e32 vcc_lo, s6, v1
	v_cmp_ne_u32_e64 s1, 0, v5
	s_xor_b32 s8, s8, -1
	s_lshr_b32 s9, s2, 8
	v_lshl_or_b32 v4, v2, 2, v29
	v_mad_u64_u32 v[1:2], null, s2, s7, v[0:1]
	v_add_nc_u32_e32 v0, v29, v30
	v_lshl_add_u32 v29, s3, 11, v3
	v_mov_b32_e32 v3, 0
	v_or_b32_e32 v5, 0x400, v4
	v_or_b32_e32 v6, 0x480, v4
	v_add_nc_u32_e32 v7, 0x3a4, v4
	v_add_nc_u32_e32 v8, 0x2a4, v4
	;; [unrolled: 1-line block ×3, first 2 shown]
	v_or_b32_e32 v10, 0x80, v4
	v_or_b32_e32 v11, 0x500, v4
	v_add_nc_u32_e32 v12, 0x424, v4
	v_add_nc_u32_e32 v13, 0x324, v4
	;; [unrolled: 1-line block ×3, first 2 shown]
	v_or_b32_e32 v15, 0x100, v4
	v_or_b32_e32 v16, 0x580, v4
	v_add_nc_u32_e32 v17, 0x4a4, v4
	v_add_nc_u32_e32 v18, 0x2b4, v4
	v_or_b32_e32 v19, 0x180, v4
	v_or_b32_e32 v20, 0x600, v4
	v_add_nc_u32_e32 v21, 0x524, v4
	v_add_nc_u32_e32 v22, 0x334, v4
	;; [unrolled: 4-line block ×3, first 2 shown]
	v_or_b32_e32 v27, 0x280, v4
	v_or_b32_e32 v28, 0x300, v4
	s_or_b32 s10, s8, vcc_lo
	s_mov_b32 s8, 0
	s_and_b32 s1, s1, s10
	s_add_i32 s7, s9, -2
	s_branch .LBB3_8
.LBB3_7:                                ;   in Loop: Header=BB3_8 Depth=1
	v_add_nc_u32_e32 v1, 0x100, v1
	s_add_i32 s9, s8, 1
	s_cmp_eq_u32 s8, s7
	s_mov_b32 s8, s9
	s_waitcnt lgkmcnt(0)
	s_waitcnt_vscnt null, 0x0
	s_barrier
	buffer_gl0_inv
	s_cbranch_scc1 .LBB3_26
.LBB3_8:                                ; =>This Loop Header: Depth=1
                                        ;     Child Loop BB3_25 Depth 2
	s_and_saveexec_b32 s9, s1
	s_cbranch_execz .LBB3_10
; %bb.9:                                ;   in Loop: Header=BB3_8 Depth=1
	ds_load_2addr_b32 v[30:31], v4 offset0:137 offset1:201
	ds_load_2addr_b32 v[32:33], v4 offset1:77
	s_waitcnt lgkmcnt(1)
	v_add_nc_u32_e32 v2, v30, v31
	s_waitcnt lgkmcnt(0)
	s_delay_alu instid0(VALU_DEP_1)
	v_add3_u32 v2, v2, v33, v32
	ds_store_b32 v4, v2 offset:1024
.LBB3_10:                               ;   in Loop: Header=BB3_8 Depth=1
	s_or_b32 exec_lo, exec_lo, s9
	s_waitcnt lgkmcnt(0)
	s_barrier
	buffer_gl0_inv
	s_and_saveexec_b32 s9, s1
	s_cbranch_execz .LBB3_12
; %bb.11:                               ;   in Loop: Header=BB3_8 Depth=1
	ds_load_b32 v2, v7
	ds_load_b32 v30, v8
	ds_load_b32 v31, v9
	ds_load_b32 v32, v10
	s_waitcnt lgkmcnt(2)
	v_add_nc_u32_e32 v2, v30, v2
	s_waitcnt lgkmcnt(0)
	s_delay_alu instid0(VALU_DEP_1)
	v_add3_u32 v2, v2, v31, v32
	ds_store_b32 v6, v2
.LBB3_12:                               ;   in Loop: Header=BB3_8 Depth=1
	s_or_b32 exec_lo, exec_lo, s9
	s_waitcnt lgkmcnt(0)
	s_barrier
	buffer_gl0_inv
	s_and_saveexec_b32 s9, s1
	s_cbranch_execz .LBB3_14
; %bb.13:                               ;   in Loop: Header=BB3_8 Depth=1
	ds_load_b32 v2, v12
	ds_load_b32 v30, v13
	ds_load_b32 v31, v14
	ds_load_b32 v32, v15
	s_waitcnt lgkmcnt(2)
	v_add_nc_u32_e32 v2, v30, v2
	s_waitcnt lgkmcnt(0)
	s_delay_alu instid0(VALU_DEP_1)
	v_add3_u32 v2, v2, v31, v32
	ds_store_b32 v11, v2
.LBB3_14:                               ;   in Loop: Header=BB3_8 Depth=1
	;; [unrolled: 18-line block ×5, first 2 shown]
	s_or_b32 exec_lo, exec_lo, s9
	s_waitcnt lgkmcnt(0)
	s_barrier
	buffer_gl0_inv
	s_and_saveexec_b32 s9, s1
	s_cbranch_execz .LBB3_22
; %bb.21:                               ;   in Loop: Header=BB3_8 Depth=1
	ds_load_2addr_b32 v[30:31], v5 offset0:13 offset1:73
	ds_load_b32 v2, v5 offset:548
	ds_load_b32 v32, v28
	s_waitcnt lgkmcnt(1)
	v_add_nc_u32_e32 v2, v31, v2
	s_waitcnt lgkmcnt(0)
	s_delay_alu instid0(VALU_DEP_1)
	v_add3_u32 v2, v2, v30, v32
	ds_store_b32 v5, v2 offset:768
.LBB3_22:                               ;   in Loop: Header=BB3_8 Depth=1
	s_or_b32 exec_lo, exec_lo, s9
	s_waitcnt lgkmcnt(0)
	s_barrier
	buffer_gl0_inv
	s_and_saveexec_b32 s9, s1
	s_cbranch_execz .LBB3_24
; %bb.23:                               ;   in Loop: Header=BB3_8 Depth=1
	ds_load_2addr_b32 v[30:31], v5 offset0:45 offset1:105
	ds_load_b32 v2, v5 offset:676
	ds_load_b32 v32, v0 offset:1024
	s_waitcnt lgkmcnt(1)
	v_add_nc_u32_e32 v2, v31, v2
	s_waitcnt lgkmcnt(0)
	s_delay_alu instid0(VALU_DEP_1)
	v_add3_u32 v2, v2, v30, v32
	ds_store_b32 v5, v2 offset:896
.LBB3_24:                               ;   in Loop: Header=BB3_8 Depth=1
	s_or_b32 exec_lo, exec_lo, s9
	v_mov_b32_e32 v2, v1
	v_mov_b32_e32 v30, v29
	s_and_b32 vcc_lo, exec_lo, s0
	s_mov_b32 s9, s3
	s_waitcnt lgkmcnt(0)
	s_barrier
	buffer_gl0_inv
	s_cbranch_vccz .LBB3_7
	.p2align	6
.LBB3_25:                               ;   Parent Loop BB3_8 Depth=1
                                        ; =>  This Inner Loop Header: Depth=2
	ds_load_b32 v33, v30 offset:1024
	v_lshlrev_b64 v[31:32], 2, v[2:3]
	v_add_nc_u32_e32 v2, s2, v2
	s_add_i32 s9, s9, 1
	s_delay_alu instid0(SALU_CYCLE_1) | instskip(NEXT) | instid1(VALU_DEP_2)
	s_cmp_ge_i32 s9, s6
	v_add_co_u32 v31, vcc_lo, s4, v31
	s_delay_alu instid0(VALU_DEP_3)
	v_add_co_ci_u32_e32 v32, vcc_lo, s5, v32, vcc_lo
	s_waitcnt lgkmcnt(0)
	ds_store_b32 v30, v33
	v_add_nc_u32_e32 v30, 0x800, v30
	global_store_b32 v[31:32], v33, off
	s_cbranch_scc0 .LBB3_25
	s_branch .LBB3_7
.LBB3_26:
	s_endpgm
	.section	.rodata,"a",@progbits
	.p2align	6, 0x0
	.amdhsa_kernel _Z7colsGPUPjii
		.amdhsa_group_segment_fixed_size 16384
		.amdhsa_private_segment_fixed_size 0
		.amdhsa_kernarg_size 272
		.amdhsa_user_sgpr_count 15
		.amdhsa_user_sgpr_dispatch_ptr 0
		.amdhsa_user_sgpr_queue_ptr 0
		.amdhsa_user_sgpr_kernarg_segment_ptr 1
		.amdhsa_user_sgpr_dispatch_id 0
		.amdhsa_user_sgpr_private_segment_size 0
		.amdhsa_wavefront_size32 1
		.amdhsa_uses_dynamic_stack 0
		.amdhsa_enable_private_segment 0
		.amdhsa_system_sgpr_workgroup_id_x 1
		.amdhsa_system_sgpr_workgroup_id_y 0
		.amdhsa_system_sgpr_workgroup_id_z 0
		.amdhsa_system_sgpr_workgroup_info 0
		.amdhsa_system_vgpr_workitem_id 0
		.amdhsa_next_free_vgpr 34
		.amdhsa_next_free_sgpr 16
		.amdhsa_reserve_vcc 1
		.amdhsa_float_round_mode_32 0
		.amdhsa_float_round_mode_16_64 0
		.amdhsa_float_denorm_mode_32 3
		.amdhsa_float_denorm_mode_16_64 3
		.amdhsa_dx10_clamp 1
		.amdhsa_ieee_mode 1
		.amdhsa_fp16_overflow 0
		.amdhsa_workgroup_processor_mode 1
		.amdhsa_memory_ordered 1
		.amdhsa_forward_progress 0
		.amdhsa_shared_vgpr_count 0
		.amdhsa_exception_fp_ieee_invalid_op 0
		.amdhsa_exception_fp_denorm_src 0
		.amdhsa_exception_fp_ieee_div_zero 0
		.amdhsa_exception_fp_ieee_overflow 0
		.amdhsa_exception_fp_ieee_underflow 0
		.amdhsa_exception_fp_ieee_inexact 0
		.amdhsa_exception_int_div_zero 0
	.end_amdhsa_kernel
	.text
.Lfunc_end3:
	.size	_Z7colsGPUPjii, .Lfunc_end3-_Z7colsGPUPjii
                                        ; -- End function
	.section	.AMDGPU.csdata,"",@progbits
; Kernel info:
; codeLenInByte = 1436
; NumSgprs: 18
; NumVgprs: 34
; ScratchSize: 0
; MemoryBound: 0
; FloatMode: 240
; IeeeMode: 1
; LDSByteSize: 16384 bytes/workgroup (compile time only)
; SGPRBlocks: 2
; VGPRBlocks: 4
; NumSGPRsForWavesPerEU: 18
; NumVGPRsForWavesPerEU: 34
; Occupancy: 16
; WaveLimiterHint : 0
; COMPUTE_PGM_RSRC2:SCRATCH_EN: 0
; COMPUTE_PGM_RSRC2:USER_SGPR: 15
; COMPUTE_PGM_RSRC2:TRAP_HANDLER: 0
; COMPUTE_PGM_RSRC2:TGID_X_EN: 1
; COMPUTE_PGM_RSRC2:TGID_Y_EN: 0
; COMPUTE_PGM_RSRC2:TGID_Z_EN: 0
; COMPUTE_PGM_RSRC2:TIDIG_COMP_CNT: 0
	.text
	.p2alignl 7, 3214868480
	.fill 96, 4, 3214868480
	.type	__hip_cuid_a885229619f2e5fd,@object ; @__hip_cuid_a885229619f2e5fd
	.section	.bss,"aw",@nobits
	.globl	__hip_cuid_a885229619f2e5fd
__hip_cuid_a885229619f2e5fd:
	.byte	0                               ; 0x0
	.size	__hip_cuid_a885229619f2e5fd, 1

	.ident	"AMD clang version 19.0.0git (https://github.com/RadeonOpenCompute/llvm-project roc-6.4.0 25133 c7fe45cf4b819c5991fe208aaa96edf142730f1d)"
	.section	".note.GNU-stack","",@progbits
	.addrsig
	.addrsig_sym __hip_cuid_a885229619f2e5fd
	.amdgpu_metadata
---
amdhsa.kernels:
  - .args:
      - .address_space:  global
        .offset:         0
        .size:           8
        .value_kind:     global_buffer
      - .offset:         8
        .size:           4
        .value_kind:     by_value
    .group_segment_fixed_size: 2048
    .kernarg_segment_align: 8
    .kernarg_segment_size: 12
    .language:       OpenCL C
    .language_version:
      - 2
      - 0
    .max_flat_workgroup_size: 1024
    .name:           _Z11firstColGPUPji
    .private_segment_fixed_size: 0
    .sgpr_count:     6
    .sgpr_spill_count: 0
    .symbol:         _Z11firstColGPUPji.kd
    .uniform_work_group_size: 1
    .uses_dynamic_stack: false
    .vgpr_count:     25
    .vgpr_spill_count: 0
    .wavefront_size: 32
    .workgroup_processor_mode: 1
  - .args:
      - .address_space:  global
        .offset:         0
        .size:           8
        .value_kind:     global_buffer
      - .offset:         8
        .size:           4
        .value_kind:     by_value
    .group_segment_fixed_size: 3072
    .kernarg_segment_align: 8
    .kernarg_segment_size: 12
    .language:       OpenCL C
    .language_version:
      - 2
      - 0
    .max_flat_workgroup_size: 1024
    .name:           _Z7colYGPUPji
    .private_segment_fixed_size: 0
    .sgpr_count:     6
    .sgpr_spill_count: 0
    .symbol:         _Z7colYGPUPji.kd
    .uniform_work_group_size: 1
    .uses_dynamic_stack: false
    .vgpr_count:     34
    .vgpr_spill_count: 0
    .wavefront_size: 32
    .workgroup_processor_mode: 1
  - .args:
      - .address_space:  global
        .offset:         0
        .size:           8
        .value_kind:     global_buffer
      - .actual_access:  read_only
        .address_space:  global
        .offset:         8
        .size:           8
        .value_kind:     global_buffer
      - .offset:         16
        .size:           4
        .value_kind:     by_value
      - .offset:         20
        .size:           4
        .value_kind:     by_value
    .group_segment_fixed_size: 9216
    .kernarg_segment_align: 8
    .kernarg_segment_size: 24
    .language:       OpenCL C
    .language_version:
      - 2
      - 0
    .max_flat_workgroup_size: 1024
    .name:           _Z10lastEntGPUPjS_ii
    .private_segment_fixed_size: 0
    .sgpr_count:     22
    .sgpr_spill_count: 0
    .symbol:         _Z10lastEntGPUPjS_ii.kd
    .uniform_work_group_size: 1
    .uses_dynamic_stack: false
    .vgpr_count:     32
    .vgpr_spill_count: 0
    .wavefront_size: 32
    .workgroup_processor_mode: 1
  - .args:
      - .address_space:  global
        .offset:         0
        .size:           8
        .value_kind:     global_buffer
      - .offset:         8
        .size:           4
        .value_kind:     by_value
      - .offset:         12
        .size:           4
        .value_kind:     by_value
      - .offset:         16
        .size:           4
        .value_kind:     hidden_block_count_x
      - .offset:         20
        .size:           4
        .value_kind:     hidden_block_count_y
      - .offset:         24
        .size:           4
        .value_kind:     hidden_block_count_z
      - .offset:         28
        .size:           2
        .value_kind:     hidden_group_size_x
      - .offset:         30
        .size:           2
        .value_kind:     hidden_group_size_y
      - .offset:         32
        .size:           2
        .value_kind:     hidden_group_size_z
      - .offset:         34
        .size:           2
        .value_kind:     hidden_remainder_x
      - .offset:         36
        .size:           2
        .value_kind:     hidden_remainder_y
      - .offset:         38
        .size:           2
        .value_kind:     hidden_remainder_z
      - .offset:         56
        .size:           8
        .value_kind:     hidden_global_offset_x
      - .offset:         64
        .size:           8
        .value_kind:     hidden_global_offset_y
      - .offset:         72
        .size:           8
        .value_kind:     hidden_global_offset_z
      - .offset:         80
        .size:           2
        .value_kind:     hidden_grid_dims
    .group_segment_fixed_size: 16384
    .kernarg_segment_align: 8
    .kernarg_segment_size: 272
    .language:       OpenCL C
    .language_version:
      - 2
      - 0
    .max_flat_workgroup_size: 1024
    .name:           _Z7colsGPUPjii
    .private_segment_fixed_size: 0
    .sgpr_count:     18
    .sgpr_spill_count: 0
    .symbol:         _Z7colsGPUPjii.kd
    .uniform_work_group_size: 1
    .uses_dynamic_stack: false
    .vgpr_count:     34
    .vgpr_spill_count: 0
    .wavefront_size: 32
    .workgroup_processor_mode: 1
amdhsa.target:   amdgcn-amd-amdhsa--gfx1100
amdhsa.version:
  - 1
  - 2
...

	.end_amdgpu_metadata
